;; amdgpu-corpus repo=ROCm/rocFFT kind=compiled arch=gfx1201 opt=O3
	.text
	.amdgcn_target "amdgcn-amd-amdhsa--gfx1201"
	.amdhsa_code_object_version 6
	.protected	fft_rtc_back_len154_factors_11_7_2_wgs_110_tpt_22_dp_ip_CI_unitstride_sbrr_dirReg ; -- Begin function fft_rtc_back_len154_factors_11_7_2_wgs_110_tpt_22_dp_ip_CI_unitstride_sbrr_dirReg
	.globl	fft_rtc_back_len154_factors_11_7_2_wgs_110_tpt_22_dp_ip_CI_unitstride_sbrr_dirReg
	.p2align	8
	.type	fft_rtc_back_len154_factors_11_7_2_wgs_110_tpt_22_dp_ip_CI_unitstride_sbrr_dirReg,@function
fft_rtc_back_len154_factors_11_7_2_wgs_110_tpt_22_dp_ip_CI_unitstride_sbrr_dirReg: ; @fft_rtc_back_len154_factors_11_7_2_wgs_110_tpt_22_dp_ip_CI_unitstride_sbrr_dirReg
; %bb.0:
	s_load_b128 s[4:7], s[0:1], 0x0
	v_mul_u32_u24_e32 v1, 0xba3, v0
	s_clause 0x1
	s_load_b64 s[8:9], s[0:1], 0x50
	s_load_b64 s[10:11], s[0:1], 0x18
	v_mov_b32_e32 v5, 0
	v_lshrrev_b32_e32 v1, 16, v1
	s_delay_alu instid0(VALU_DEP_1) | instskip(SKIP_3) | instid1(VALU_DEP_1)
	v_mad_co_u64_u32 v[1:2], null, ttmp9, 5, v[1:2]
	v_mov_b32_e32 v3, 0
	v_mov_b32_e32 v4, 0
	;; [unrolled: 1-line block ×4, first 2 shown]
	s_wait_kmcnt 0x0
	v_cmp_lt_u64_e64 s2, s[6:7], 2
	v_mov_b32_e32 v9, v1
	s_delay_alu instid0(VALU_DEP_2)
	s_and_b32 vcc_lo, exec_lo, s2
	s_cbranch_vccnz .LBB0_8
; %bb.1:
	s_load_b64 s[2:3], s[0:1], 0x10
	v_dual_mov_b32 v3, 0 :: v_dual_mov_b32 v8, v2
	v_dual_mov_b32 v4, 0 :: v_dual_mov_b32 v7, v1
	s_add_nc_u64 s[12:13], s[10:11], 8
	s_mov_b64 s[14:15], 1
	s_wait_kmcnt 0x0
	s_add_nc_u64 s[16:17], s[2:3], 8
	s_mov_b32 s3, 0
.LBB0_2:                                ; =>This Inner Loop Header: Depth=1
	s_load_b64 s[18:19], s[16:17], 0x0
                                        ; implicit-def: $vgpr9_vgpr10
	s_mov_b32 s2, exec_lo
	s_wait_kmcnt 0x0
	v_or_b32_e32 v6, s19, v8
	s_delay_alu instid0(VALU_DEP_1)
	v_cmpx_ne_u64_e32 0, v[5:6]
	s_wait_alu 0xfffe
	s_xor_b32 s20, exec_lo, s2
	s_cbranch_execz .LBB0_4
; %bb.3:                                ;   in Loop: Header=BB0_2 Depth=1
	s_cvt_f32_u32 s2, s18
	s_cvt_f32_u32 s21, s19
	s_sub_nc_u64 s[24:25], 0, s[18:19]
	s_wait_alu 0xfffe
	s_delay_alu instid0(SALU_CYCLE_1) | instskip(SKIP_1) | instid1(SALU_CYCLE_2)
	s_fmamk_f32 s2, s21, 0x4f800000, s2
	s_wait_alu 0xfffe
	v_s_rcp_f32 s2, s2
	s_delay_alu instid0(TRANS32_DEP_1) | instskip(SKIP_1) | instid1(SALU_CYCLE_2)
	s_mul_f32 s2, s2, 0x5f7ffffc
	s_wait_alu 0xfffe
	s_mul_f32 s21, s2, 0x2f800000
	s_wait_alu 0xfffe
	s_delay_alu instid0(SALU_CYCLE_2) | instskip(SKIP_1) | instid1(SALU_CYCLE_2)
	s_trunc_f32 s21, s21
	s_wait_alu 0xfffe
	s_fmamk_f32 s2, s21, 0xcf800000, s2
	s_cvt_u32_f32 s23, s21
	s_wait_alu 0xfffe
	s_delay_alu instid0(SALU_CYCLE_1) | instskip(SKIP_1) | instid1(SALU_CYCLE_2)
	s_cvt_u32_f32 s22, s2
	s_wait_alu 0xfffe
	s_mul_u64 s[26:27], s[24:25], s[22:23]
	s_wait_alu 0xfffe
	s_mul_hi_u32 s29, s22, s27
	s_mul_i32 s28, s22, s27
	s_mul_hi_u32 s2, s22, s26
	s_mul_i32 s30, s23, s26
	s_wait_alu 0xfffe
	s_add_nc_u64 s[28:29], s[2:3], s[28:29]
	s_mul_hi_u32 s21, s23, s26
	s_mul_hi_u32 s31, s23, s27
	s_add_co_u32 s2, s28, s30
	s_wait_alu 0xfffe
	s_add_co_ci_u32 s2, s29, s21
	s_mul_i32 s26, s23, s27
	s_add_co_ci_u32 s27, s31, 0
	s_wait_alu 0xfffe
	s_add_nc_u64 s[26:27], s[2:3], s[26:27]
	s_wait_alu 0xfffe
	v_add_co_u32 v2, s2, s22, s26
	s_delay_alu instid0(VALU_DEP_1) | instskip(SKIP_1) | instid1(VALU_DEP_1)
	s_cmp_lg_u32 s2, 0
	s_add_co_ci_u32 s23, s23, s27
	v_readfirstlane_b32 s22, v2
	s_wait_alu 0xfffe
	s_delay_alu instid0(VALU_DEP_1)
	s_mul_u64 s[24:25], s[24:25], s[22:23]
	s_wait_alu 0xfffe
	s_mul_hi_u32 s27, s22, s25
	s_mul_i32 s26, s22, s25
	s_mul_hi_u32 s2, s22, s24
	s_mul_i32 s28, s23, s24
	s_wait_alu 0xfffe
	s_add_nc_u64 s[26:27], s[2:3], s[26:27]
	s_mul_hi_u32 s21, s23, s24
	s_mul_hi_u32 s22, s23, s25
	s_wait_alu 0xfffe
	s_add_co_u32 s2, s26, s28
	s_add_co_ci_u32 s2, s27, s21
	s_mul_i32 s24, s23, s25
	s_add_co_ci_u32 s25, s22, 0
	s_wait_alu 0xfffe
	s_add_nc_u64 s[24:25], s[2:3], s[24:25]
	s_wait_alu 0xfffe
	v_add_co_u32 v2, s2, v2, s24
	s_delay_alu instid0(VALU_DEP_1) | instskip(SKIP_1) | instid1(VALU_DEP_1)
	s_cmp_lg_u32 s2, 0
	s_add_co_ci_u32 s2, s23, s25
	v_mul_hi_u32 v6, v7, v2
	s_wait_alu 0xfffe
	v_mad_co_u64_u32 v[9:10], null, v7, s2, 0
	v_mad_co_u64_u32 v[11:12], null, v8, v2, 0
	;; [unrolled: 1-line block ×3, first 2 shown]
	s_delay_alu instid0(VALU_DEP_3) | instskip(SKIP_1) | instid1(VALU_DEP_4)
	v_add_co_u32 v2, vcc_lo, v6, v9
	s_wait_alu 0xfffd
	v_add_co_ci_u32_e32 v6, vcc_lo, 0, v10, vcc_lo
	s_delay_alu instid0(VALU_DEP_2) | instskip(SKIP_1) | instid1(VALU_DEP_2)
	v_add_co_u32 v2, vcc_lo, v2, v11
	s_wait_alu 0xfffd
	v_add_co_ci_u32_e32 v2, vcc_lo, v6, v12, vcc_lo
	s_wait_alu 0xfffd
	v_add_co_ci_u32_e32 v6, vcc_lo, 0, v14, vcc_lo
	s_delay_alu instid0(VALU_DEP_2) | instskip(SKIP_1) | instid1(VALU_DEP_2)
	v_add_co_u32 v2, vcc_lo, v2, v13
	s_wait_alu 0xfffd
	v_add_co_ci_u32_e32 v6, vcc_lo, 0, v6, vcc_lo
	s_delay_alu instid0(VALU_DEP_2) | instskip(SKIP_1) | instid1(VALU_DEP_3)
	v_mul_lo_u32 v11, s19, v2
	v_mad_co_u64_u32 v[9:10], null, s18, v2, 0
	v_mul_lo_u32 v12, s18, v6
	s_delay_alu instid0(VALU_DEP_2) | instskip(NEXT) | instid1(VALU_DEP_2)
	v_sub_co_u32 v9, vcc_lo, v7, v9
	v_add3_u32 v10, v10, v12, v11
	s_delay_alu instid0(VALU_DEP_1) | instskip(SKIP_1) | instid1(VALU_DEP_1)
	v_sub_nc_u32_e32 v11, v8, v10
	s_wait_alu 0xfffd
	v_subrev_co_ci_u32_e64 v11, s2, s19, v11, vcc_lo
	v_add_co_u32 v12, s2, v2, 2
	s_wait_alu 0xf1ff
	v_add_co_ci_u32_e64 v13, s2, 0, v6, s2
	v_sub_co_u32 v14, s2, v9, s18
	v_sub_co_ci_u32_e32 v10, vcc_lo, v8, v10, vcc_lo
	s_wait_alu 0xf1ff
	v_subrev_co_ci_u32_e64 v11, s2, 0, v11, s2
	s_delay_alu instid0(VALU_DEP_3) | instskip(NEXT) | instid1(VALU_DEP_3)
	v_cmp_le_u32_e32 vcc_lo, s18, v14
	v_cmp_eq_u32_e64 s2, s19, v10
	s_wait_alu 0xfffd
	v_cndmask_b32_e64 v14, 0, -1, vcc_lo
	v_cmp_le_u32_e32 vcc_lo, s19, v11
	s_wait_alu 0xfffd
	v_cndmask_b32_e64 v15, 0, -1, vcc_lo
	v_cmp_le_u32_e32 vcc_lo, s18, v9
	;; [unrolled: 3-line block ×3, first 2 shown]
	s_wait_alu 0xfffd
	v_cndmask_b32_e64 v16, 0, -1, vcc_lo
	v_cmp_eq_u32_e32 vcc_lo, s19, v11
	s_wait_alu 0xf1ff
	s_delay_alu instid0(VALU_DEP_2)
	v_cndmask_b32_e64 v9, v16, v9, s2
	s_wait_alu 0xfffd
	v_cndmask_b32_e32 v11, v15, v14, vcc_lo
	v_add_co_u32 v14, vcc_lo, v2, 1
	s_wait_alu 0xfffd
	v_add_co_ci_u32_e32 v15, vcc_lo, 0, v6, vcc_lo
	s_delay_alu instid0(VALU_DEP_3) | instskip(SKIP_1) | instid1(VALU_DEP_2)
	v_cmp_ne_u32_e32 vcc_lo, 0, v11
	s_wait_alu 0xfffd
	v_dual_cndmask_b32 v10, v15, v13 :: v_dual_cndmask_b32 v11, v14, v12
	v_cmp_ne_u32_e32 vcc_lo, 0, v9
	s_wait_alu 0xfffd
	s_delay_alu instid0(VALU_DEP_2) | instskip(NEXT) | instid1(VALU_DEP_3)
	v_cndmask_b32_e32 v10, v6, v10, vcc_lo
	v_cndmask_b32_e32 v9, v2, v11, vcc_lo
.LBB0_4:                                ;   in Loop: Header=BB0_2 Depth=1
	s_wait_alu 0xfffe
	s_and_not1_saveexec_b32 s2, s20
	s_cbranch_execz .LBB0_6
; %bb.5:                                ;   in Loop: Header=BB0_2 Depth=1
	v_cvt_f32_u32_e32 v2, s18
	s_sub_co_i32 s20, 0, s18
	s_delay_alu instid0(VALU_DEP_1) | instskip(NEXT) | instid1(TRANS32_DEP_1)
	v_rcp_iflag_f32_e32 v2, v2
	v_mul_f32_e32 v2, 0x4f7ffffe, v2
	s_delay_alu instid0(VALU_DEP_1) | instskip(SKIP_1) | instid1(VALU_DEP_1)
	v_cvt_u32_f32_e32 v2, v2
	s_wait_alu 0xfffe
	v_mul_lo_u32 v6, s20, v2
	s_delay_alu instid0(VALU_DEP_1) | instskip(NEXT) | instid1(VALU_DEP_1)
	v_mul_hi_u32 v6, v2, v6
	v_add_nc_u32_e32 v2, v2, v6
	s_delay_alu instid0(VALU_DEP_1) | instskip(NEXT) | instid1(VALU_DEP_1)
	v_mul_hi_u32 v2, v7, v2
	v_mul_lo_u32 v6, v2, s18
	v_add_nc_u32_e32 v9, 1, v2
	s_delay_alu instid0(VALU_DEP_2) | instskip(NEXT) | instid1(VALU_DEP_1)
	v_sub_nc_u32_e32 v6, v7, v6
	v_subrev_nc_u32_e32 v10, s18, v6
	v_cmp_le_u32_e32 vcc_lo, s18, v6
	s_wait_alu 0xfffd
	s_delay_alu instid0(VALU_DEP_2) | instskip(SKIP_2) | instid1(VALU_DEP_3)
	v_cndmask_b32_e32 v6, v6, v10, vcc_lo
	v_mov_b32_e32 v10, v5
	v_cndmask_b32_e32 v2, v2, v9, vcc_lo
	v_cmp_le_u32_e32 vcc_lo, s18, v6
	s_delay_alu instid0(VALU_DEP_2) | instskip(SKIP_1) | instid1(VALU_DEP_1)
	v_add_nc_u32_e32 v9, 1, v2
	s_wait_alu 0xfffd
	v_cndmask_b32_e32 v9, v2, v9, vcc_lo
.LBB0_6:                                ;   in Loop: Header=BB0_2 Depth=1
	s_wait_alu 0xfffe
	s_or_b32 exec_lo, exec_lo, s2
	s_load_b64 s[20:21], s[12:13], 0x0
	v_mul_lo_u32 v2, v10, s18
	v_mul_lo_u32 v6, v9, s19
	v_mad_co_u64_u32 v[11:12], null, v9, s18, 0
	s_add_nc_u64 s[14:15], s[14:15], 1
	s_add_nc_u64 s[12:13], s[12:13], 8
	s_wait_alu 0xfffe
	v_cmp_ge_u64_e64 s2, s[14:15], s[6:7]
	s_add_nc_u64 s[16:17], s[16:17], 8
	s_delay_alu instid0(VALU_DEP_2) | instskip(NEXT) | instid1(VALU_DEP_3)
	v_add3_u32 v2, v12, v6, v2
	v_sub_co_u32 v6, vcc_lo, v7, v11
	s_wait_alu 0xfffd
	s_delay_alu instid0(VALU_DEP_2) | instskip(SKIP_3) | instid1(VALU_DEP_2)
	v_sub_co_ci_u32_e32 v2, vcc_lo, v8, v2, vcc_lo
	s_and_b32 vcc_lo, exec_lo, s2
	s_wait_kmcnt 0x0
	v_mul_lo_u32 v7, s21, v6
	v_mul_lo_u32 v2, s20, v2
	v_mad_co_u64_u32 v[3:4], null, s20, v6, v[3:4]
	s_delay_alu instid0(VALU_DEP_1)
	v_add3_u32 v4, v7, v4, v2
	s_wait_alu 0xfffe
	s_cbranch_vccnz .LBB0_8
; %bb.7:                                ;   in Loop: Header=BB0_2 Depth=1
	v_dual_mov_b32 v7, v9 :: v_dual_mov_b32 v8, v10
	s_branch .LBB0_2
.LBB0_8:
	s_lshl_b64 s[2:3], s[6:7], 3
	v_mul_hi_u32 v2, 0xcccccccd, v1
	s_wait_alu 0xfffe
	s_add_nc_u64 s[2:3], s[10:11], s[2:3]
	s_load_b64 s[0:1], s[0:1], 0x20
	s_load_b64 s[2:3], s[2:3], 0x0
	v_mul_hi_u32 v5, 0xba2e8bb, v0
	s_delay_alu instid0(VALU_DEP_2) | instskip(NEXT) | instid1(VALU_DEP_1)
	v_lshrrev_b32_e32 v2, 2, v2
	v_lshl_add_u32 v6, v2, 2, v2
	s_delay_alu instid0(VALU_DEP_1)
	v_sub_nc_u32_e32 v1, v1, v6
	s_wait_kmcnt 0x0
	v_cmp_gt_u64_e32 vcc_lo, s[0:1], v[9:10]
	v_mul_lo_u32 v7, s2, v10
	v_mul_lo_u32 v8, s3, v9
	v_mad_co_u64_u32 v[2:3], null, s2, v9, v[3:4]
	v_mul_u32_u24_e32 v4, 22, v5
	v_mul_u32_u24_e32 v112, 0x9a, v1
	s_delay_alu instid0(VALU_DEP_2) | instskip(NEXT) | instid1(VALU_DEP_4)
	v_sub_nc_u32_e32 v50, v0, v4
	v_add3_u32 v3, v8, v3, v7
	s_delay_alu instid0(VALU_DEP_3) | instskip(NEXT) | instid1(VALU_DEP_3)
	v_lshlrev_b32_e32 v115, 4, v112
	v_lshlrev_b32_e32 v0, 4, v50
	s_delay_alu instid0(VALU_DEP_3)
	v_lshlrev_b64_e32 v[48:49], 4, v[2:3]
	s_and_saveexec_b32 s1, vcc_lo
	s_cbranch_execz .LBB0_10
; %bb.9:
	v_mov_b32_e32 v51, 0
	s_delay_alu instid0(VALU_DEP_2) | instskip(SKIP_2) | instid1(VALU_DEP_3)
	v_add_co_u32 v3, s0, s8, v48
	s_wait_alu 0xf1ff
	v_add_co_ci_u32_e64 v4, s0, s9, v49, s0
	v_lshlrev_b64_e32 v[1:2], 4, v[50:51]
	v_add3_u32 v29, 0, v115, v0
	s_delay_alu instid0(VALU_DEP_2) | instskip(SKIP_1) | instid1(VALU_DEP_3)
	v_add_co_u32 v25, s0, v3, v1
	s_wait_alu 0xf1ff
	v_add_co_ci_u32_e64 v26, s0, v4, v2, s0
	s_clause 0x6
	global_load_b128 v[1:4], v[25:26], off
	global_load_b128 v[5:8], v[25:26], off offset:352
	global_load_b128 v[9:12], v[25:26], off offset:704
	;; [unrolled: 1-line block ×6, first 2 shown]
	s_wait_loadcnt 0x6
	ds_store_b128 v29, v[1:4]
	s_wait_loadcnt 0x5
	ds_store_b128 v29, v[5:8] offset:352
	s_wait_loadcnt 0x4
	ds_store_b128 v29, v[9:12] offset:704
	;; [unrolled: 2-line block ×6, first 2 shown]
.LBB0_10:
	s_wait_alu 0xfffe
	s_or_b32 exec_lo, exec_lo, s1
	v_add_nc_u32_e32 v113, 0, v0
	global_wb scope:SCOPE_SE
	s_wait_dscnt 0x0
	s_barrier_signal -1
	s_barrier_wait -1
	global_inv scope:SCOPE_SE
	v_add_nc_u32_e32 v111, v113, v115
	v_add3_u32 v114, 0, v115, v0
	s_mov_b32 s2, 0x7f775887
	s_mov_b32 s18, 0xbb3a28a1
	;; [unrolled: 1-line block ×3, first 2 shown]
	ds_load_b128 v[4:7], v111 offset:2240
	ds_load_b128 v[36:39], v111 offset:224
	ds_load_b128 v[20:23], v114
	ds_load_b128 v[8:11], v111 offset:2016
	ds_load_b128 v[44:47], v111 offset:448
	s_mov_b32 s19, 0xbfe82f19
	ds_load_b128 v[40:43], v111 offset:672
	ds_load_b128 v[12:15], v111 offset:1792
	s_mov_b32 s6, 0x640f44db
	s_mov_b32 s20, 0x43842ef
	s_mov_b32 s7, 0xbfc2375f
	s_mov_b32 s21, 0x3fefac9e
	ds_load_b128 v[16:19], v111 offset:1568
	ds_load_b128 v[32:35], v111 offset:896
	s_mov_b32 s10, 0x8764f0ba
	s_mov_b32 s22, 0xf8bb580b
	s_mov_b32 s11, 0x3feaeb8c
	;; [unrolled: 6-line block ×3, first 2 shown]
	s_mov_b32 s13, 0xbfeeb42a
	s_mov_b32 s14, 0xd9c712b6
	s_wait_dscnt 0x9
	v_add_f64_e64 v[97:98], v[38:39], -v[6:7]
	v_add_f64_e32 v[69:70], v[38:39], v[6:7]
	v_add_f64_e32 v[71:72], v[36:37], v[4:5]
	v_add_f64_e64 v[103:104], v[36:37], -v[4:5]
	s_wait_dscnt 0x6
	v_add_f64_e64 v[87:88], v[46:47], -v[10:11]
	v_add_f64_e32 v[67:68], v[46:47], v[10:11]
	v_add_f64_e32 v[61:62], v[44:45], v[8:9]
	v_add_f64_e64 v[93:94], v[44:45], -v[8:9]
	;; [unrolled: 5-line block ×4, first 2 shown]
	s_wait_dscnt 0x0
	v_add_f64_e64 v[83:84], v[26:27], -v[30:31]
	v_add_f64_e32 v[51:52], v[26:27], v[30:31]
	s_mov_b32 s15, 0x3fda9628
	s_mov_b32 s25, 0x3fed1bb4
	;; [unrolled: 1-line block ×3, first 2 shown]
	v_add_f64_e64 v[95:96], v[24:25], -v[28:29]
	s_mov_b32 s30, exec_lo
	global_wb scope:SCOPE_SE
	s_barrier_signal -1
	s_barrier_wait -1
	global_inv scope:SCOPE_SE
	s_wait_alu 0xfffe
	v_mul_f64_e32 v[79:80], s[18:19], v[97:98]
	v_mul_f64_e32 v[85:86], s[2:3], v[69:70]
	;; [unrolled: 1-line block ×9, first 2 shown]
	v_fma_f64 v[0:1], v[71:72], s[2:3], -v[79:80]
	v_fma_f64 v[2:3], v[103:104], s[18:19], v[85:86]
	v_fma_f64 v[55:56], v[61:62], s[6:7], -v[77:78]
	v_fma_f64 v[59:60], v[93:94], s[20:21], v[81:82]
	;; [unrolled: 2-line block ×4, first 2 shown]
	v_add_f64_e32 v[0:1], v[20:21], v[0:1]
	v_add_f64_e32 v[2:3], v[22:23], v[2:3]
	s_delay_alu instid0(VALU_DEP_2) | instskip(NEXT) | instid1(VALU_DEP_2)
	v_add_f64_e32 v[0:1], v[55:56], v[0:1]
	v_add_f64_e32 v[2:3], v[59:60], v[2:3]
	;; [unrolled: 1-line block ×3, first 2 shown]
	v_mul_f64_e32 v[59:60], s[24:25], v[83:84]
	s_delay_alu instid0(VALU_DEP_4) | instskip(NEXT) | instid1(VALU_DEP_4)
	v_add_f64_e32 v[0:1], v[116:117], v[0:1]
	v_add_f64_e32 v[2:3], v[118:119], v[2:3]
	v_fma_f64 v[118:119], v[95:96], s[24:25], v[65:66]
	s_delay_alu instid0(VALU_DEP_4) | instskip(NEXT) | instid1(VALU_DEP_4)
	v_fma_f64 v[116:117], v[55:56], s[14:15], -v[59:60]
	v_add_f64_e32 v[0:1], v[120:121], v[0:1]
	s_delay_alu instid0(VALU_DEP_4) | instskip(NEXT) | instid1(VALU_DEP_2)
	v_add_f64_e32 v[2:3], v[122:123], v[2:3]
	v_add_f64_e32 v[0:1], v[116:117], v[0:1]
	s_delay_alu instid0(VALU_DEP_2)
	v_add_f64_e32 v[2:3], v[118:119], v[2:3]
	v_cmpx_gt_u32_e32 14, v50
	s_cbranch_execz .LBB0_12
; %bb.11:
	v_add_f64_e32 v[38:39], v[22:23], v[38:39]
	v_add_f64_e32 v[36:37], v[20:21], v[36:37]
	v_mul_f64_e32 v[122:123], s[16:17], v[97:98]
	s_mov_b32 s1, 0xbfefac9e
	s_mov_b32 s0, s20
	v_mul_f64_e32 v[116:117], s[24:25], v[109:110]
	v_mul_f64_e32 v[118:119], s[24:25], v[107:108]
	;; [unrolled: 1-line block ×9, first 2 shown]
	s_wait_alu 0xfffe
	v_mul_f64_e32 v[152:153], s[0:1], v[103:104]
	v_mul_f64_e32 v[154:155], s[0:1], v[97:98]
	v_mul_f64_e32 v[134:135], s[20:21], v[93:94]
	s_mov_b32 s29, 0x3fd207e7
	s_mov_b32 s28, s16
	s_mov_b32 s27, 0x3fe14ced
	s_mov_b32 s26, s22
	v_mul_f64_e32 v[146:147], s[18:19], v[105:106]
	v_mul_f64_e32 v[148:149], s[18:19], v[93:94]
	v_mul_f64_e32 v[150:151], s[18:19], v[87:88]
	s_wait_alu 0xfffe
	v_mul_f64_e32 v[168:169], s[26:27], v[93:94]
	v_mul_f64_e32 v[170:171], s[28:29], v[93:94]
	;; [unrolled: 1-line block ×14, first 2 shown]
	v_add_f64_e32 v[38:39], v[38:39], v[46:47]
	v_add_f64_e32 v[36:37], v[36:37], v[44:45]
	v_mul_f64_e32 v[44:45], s[2:3], v[71:72]
	v_mul_f64_e32 v[46:47], s[18:19], v[103:104]
	;; [unrolled: 1-line block ×7, first 2 shown]
	v_fma_f64 v[178:179], v[69:70], s[10:11], v[120:121]
	v_fma_f64 v[120:121], v[69:70], s[10:11], -v[120:121]
	v_fma_f64 v[180:181], v[71:72], s[10:11], -v[128:129]
	v_fma_f64 v[128:129], v[71:72], s[10:11], v[128:129]
	v_add_f64_e64 v[101:102], v[101:102], -v[132:133]
	v_add_f64_e32 v[99:100], v[138:139], v[99:100]
	v_add_f64_e32 v[77:78], v[140:141], v[77:78]
	v_fma_f64 v[132:133], v[69:70], s[6:7], v[152:153]
	v_fma_f64 v[138:139], v[69:70], s[6:7], -v[152:153]
	v_add_f64_e64 v[81:82], v[81:82], -v[134:135]
	v_fma_f64 v[134:135], v[71:72], s[6:7], -v[154:155]
	v_fma_f64 v[154:155], v[71:72], s[6:7], v[154:155]
	v_fma_f64 v[182:183], v[67:68], s[10:11], v[168:169]
	v_fma_f64 v[168:169], v[67:68], s[10:11], -v[168:169]
	v_fma_f64 v[184:185], v[67:68], s[12:13], v[170:171]
	v_fma_f64 v[170:171], v[67:68], s[12:13], -v[170:171]
	v_fma_f64 v[188:189], v[61:62], s[12:13], -v[174:175]
	v_fma_f64 v[174:175], v[61:62], s[12:13], v[174:175]
	v_add_f64_e32 v[38:39], v[38:39], v[42:43]
	v_add_f64_e32 v[36:37], v[36:37], v[40:41]
	v_mul_f64_e32 v[42:43], s[16:17], v[103:104]
	v_mul_f64_e32 v[40:41], s[24:25], v[95:96]
	s_mov_b32 s25, 0xbfed1bb4
	v_add_f64_e64 v[46:47], v[85:86], -v[46:47]
	s_wait_alu 0xfffe
	v_mul_f64_e32 v[103:104], s[24:25], v[103:104]
	v_mul_f64_e32 v[97:98], s[24:25], v[97:98]
	v_add_f64_e32 v[44:45], v[44:45], v[79:80]
	v_mul_f64_e32 v[93:94], s[24:25], v[93:94]
	v_mul_f64_e32 v[87:88], s[24:25], v[87:88]
	v_fma_f64 v[79:80], v[71:72], s[12:13], -v[122:123]
	v_fma_f64 v[122:123], v[71:72], s[12:13], v[122:123]
	v_add_f64_e32 v[120:121], v[22:23], v[120:121]
	v_add_f64_e32 v[128:129], v[20:21], v[128:129]
	;; [unrolled: 1-line block ×8, first 2 shown]
	v_fma_f64 v[85:86], v[69:70], s[12:13], v[42:43]
	v_fma_f64 v[42:43], v[69:70], s[12:13], -v[42:43]
	v_mul_f64_e32 v[36:37], s[14:15], v[55:56]
	v_add_f64_e32 v[46:47], v[22:23], v[46:47]
	v_fma_f64 v[140:141], v[69:70], s[14:15], -v[103:104]
	v_fma_f64 v[152:153], v[71:72], s[14:15], v[97:98]
	v_fma_f64 v[69:70], v[69:70], s[14:15], v[103:104]
	v_fma_f64 v[71:72], v[71:72], s[14:15], -v[97:98]
	v_add_f64_e32 v[44:45], v[20:21], v[44:45]
	v_fma_f64 v[103:104], v[67:68], s[2:3], v[148:149]
	v_fma_f64 v[186:187], v[67:68], s[14:15], v[93:94]
	v_fma_f64 v[190:191], v[61:62], s[14:15], -v[87:88]
	v_add_f64_e32 v[79:80], v[20:21], v[79:80]
	v_fma_f64 v[97:98], v[53:54], s[14:15], v[124:125]
	v_mul_f64_e32 v[38:39], s[18:19], v[95:96]
	v_add_f64_e32 v[26:27], v[34:35], v[26:27]
	v_add_f64_e32 v[24:25], v[32:33], v[24:25]
	v_fma_f64 v[32:33], v[53:54], s[2:3], v[146:147]
	v_fma_f64 v[34:35], v[53:54], s[2:3], -v[146:147]
	v_fma_f64 v[146:147], v[67:68], s[2:3], -v[148:149]
	;; [unrolled: 1-line block ×3, first 2 shown]
	v_fma_f64 v[150:151], v[61:62], s[2:3], v[150:151]
	v_fma_f64 v[67:68], v[67:68], s[14:15], -v[93:94]
	v_fma_f64 v[93:94], v[61:62], s[10:11], -v[172:173]
	v_fma_f64 v[172:173], v[61:62], s[10:11], v[172:173]
	v_fma_f64 v[61:62], v[61:62], s[14:15], v[87:88]
	v_add_f64_e32 v[42:43], v[22:23], v[42:43]
	v_add_f64_e32 v[87:88], v[20:21], v[122:123]
	;; [unrolled: 1-line block ×11, first 2 shown]
	v_fma_f64 v[71:72], v[89:90], s[2:3], v[156:157]
	v_fma_f64 v[178:179], v[53:54], s[6:7], v[105:106]
	v_fma_f64 v[180:181], v[89:90], s[6:7], -v[91:92]
	v_add_f64_e32 v[81:82], v[184:185], v[132:133]
	v_add_f64_e32 v[26:27], v[26:27], v[30:31]
	;; [unrolled: 1-line block ×3, first 2 shown]
	v_fma_f64 v[30:31], v[89:90], s[2:3], -v[156:157]
	v_fma_f64 v[28:29], v[53:54], s[14:15], -v[124:125]
	v_fma_f64 v[124:125], v[89:90], s[14:15], -v[126:127]
	v_fma_f64 v[126:127], v[89:90], s[14:15], v[126:127]
	v_fma_f64 v[156:157], v[53:54], s[12:13], v[166:167]
	v_fma_f64 v[166:167], v[53:54], s[12:13], -v[166:167]
	v_add_f64_e32 v[79:80], v[93:94], v[79:80]
	v_fma_f64 v[53:54], v[53:54], s[6:7], -v[105:106]
	v_fma_f64 v[105:106], v[89:90], s[12:13], -v[176:177]
	v_add_f64_e32 v[42:43], v[168:169], v[42:43]
	v_add_f64_e32 v[87:88], v[172:173], v[87:88]
	;; [unrolled: 1-line block ×3, first 2 shown]
	v_fma_f64 v[176:177], v[89:90], s[12:13], v[176:177]
	v_fma_f64 v[89:90], v[89:90], s[6:7], v[91:92]
	v_add_f64_e32 v[77:78], v[186:187], v[122:123]
	v_add_f64_e32 v[67:68], v[67:68], v[120:121]
	;; [unrolled: 1-line block ×13, first 2 shown]
	v_mul_f64_e32 v[182:183], s[0:1], v[95:96]
	v_mul_f64_e32 v[95:96], s[26:27], v[95:96]
	;; [unrolled: 1-line block ×3, first 2 shown]
	v_fma_f64 v[103:104], v[57:58], s[10:11], v[142:143]
	v_fma_f64 v[138:139], v[57:58], s[2:3], v[109:110]
	v_mul_f64_e32 v[91:92], s[16:17], v[83:84]
	v_mul_f64_e32 v[83:84], s[26:27], v[83:84]
	v_fma_f64 v[140:141], v[63:64], s[10:11], -v[158:159]
	v_fma_f64 v[146:147], v[63:64], s[6:7], v[160:161]
	v_add_f64_e32 v[18:19], v[26:27], v[18:19]
	v_add_f64_e32 v[16:17], v[24:25], v[16:17]
	v_add_f64_e64 v[24:25], v[75:76], -v[130:131]
	v_add_f64_e32 v[26:27], v[136:137], v[73:74]
	v_fma_f64 v[73:74], v[57:58], s[14:15], v[116:117]
	v_fma_f64 v[75:76], v[57:58], s[14:15], -v[116:117]
	v_fma_f64 v[116:117], v[57:58], s[10:11], -v[142:143]
	v_fma_f64 v[130:131], v[57:58], s[6:7], v[144:145]
	v_fma_f64 v[136:137], v[57:58], s[6:7], -v[144:145]
	v_fma_f64 v[57:58], v[57:58], s[2:3], -v[109:110]
	v_fma_f64 v[109:110], v[63:64], s[14:15], -v[118:119]
	v_fma_f64 v[118:119], v[63:64], s[14:15], v[118:119]
	v_add_f64_e32 v[34:35], v[34:35], v[42:43]
	v_add_f64_e32 v[42:43], v[71:72], v[87:88]
	;; [unrolled: 1-line block ×4, first 2 shown]
	v_fma_f64 v[142:143], v[63:64], s[10:11], v[158:159]
	v_fma_f64 v[144:145], v[63:64], s[6:7], -v[160:161]
	v_fma_f64 v[148:149], v[63:64], s[2:3], -v[107:108]
	v_fma_f64 v[63:64], v[63:64], s[2:3], v[107:108]
	v_add_f64_e32 v[71:72], v[178:179], v[77:78]
	v_add_f64_e32 v[53:54], v[53:54], v[67:68]
	;; [unrolled: 1-line block ×11, first 2 shown]
	v_fma_f64 v[97:98], v[51:52], s[6:7], v[182:183]
	v_fma_f64 v[99:100], v[51:52], s[6:7], -v[182:183]
	v_fma_f64 v[101:102], v[51:52], s[10:11], v[95:96]
	v_fma_f64 v[87:88], v[55:56], s[2:3], v[164:165]
	v_fma_f64 v[89:90], v[55:56], s[12:13], -v[91:92]
	v_fma_f64 v[91:92], v[55:56], s[12:13], v[91:92]
	v_fma_f64 v[105:106], v[55:56], s[10:11], -v[83:84]
	v_add_f64_e32 v[14:15], v[18:19], v[14:15]
	v_add_f64_e32 v[12:13], v[16:17], v[12:13]
	;; [unrolled: 1-line block ×3, first 2 shown]
	v_add_f64_e64 v[18:19], v[65:66], -v[40:41]
	v_add_f64_e32 v[20:21], v[36:37], v[59:60]
	v_add_f64_e32 v[24:25], v[24:25], v[46:47]
	;; [unrolled: 1-line block ×3, first 2 shown]
	v_fma_f64 v[36:37], v[51:52], s[2:3], v[38:39]
	v_fma_f64 v[38:39], v[51:52], s[2:3], -v[38:39]
	v_fma_f64 v[40:41], v[51:52], s[12:13], v[162:163]
	v_fma_f64 v[59:60], v[51:52], s[12:13], -v[162:163]
	v_fma_f64 v[51:52], v[51:52], s[10:11], -v[95:96]
	v_fma_f64 v[95:96], v[55:56], s[6:7], -v[93:94]
	v_fma_f64 v[93:94], v[55:56], s[6:7], v[93:94]
	v_add_f64_e32 v[34:35], v[75:76], v[34:35]
	v_add_f64_e32 v[42:43], v[118:119], v[42:43]
	;; [unrolled: 1-line block ×4, first 2 shown]
	v_fma_f64 v[65:66], v[55:56], s[2:3], -v[164:165]
	v_fma_f64 v[55:56], v[55:56], s[10:11], v[83:84]
	v_add_f64_e32 v[44:45], v[138:139], v[71:72]
	v_add_f64_e32 v[46:47], v[57:58], v[53:54]
	v_add_f64_e32 v[53:54], v[63:64], v[61:62]
	v_add_f64_e32 v[57:58], v[103:104], v[67:68]
	v_add_f64_e32 v[63:64], v[116:117], v[28:29]
	v_add_f64_e32 v[67:68], v[136:137], v[79:80]
	v_add_f64_e32 v[71:72], v[146:147], v[81:82]
	v_add_f64_e32 v[73:74], v[142:143], v[85:86]
	v_add_f64_e32 v[61:62], v[140:141], v[77:78]
	v_add_f64_e32 v[75:76], v[130:131], v[22:23]
	v_add_f64_e32 v[69:70], v[144:145], v[69:70]
	v_add_f64_e32 v[77:78], v[14:15], v[10:11]
	v_add_f64_e32 v[79:80], v[12:13], v[8:9]
	v_add_f64_e32 v[81:82], v[148:149], v[16:17]
	v_add_f64_e32 v[18:19], v[18:19], v[24:25]
	v_add_f64_e32 v[16:17], v[20:21], v[26:27]
	v_add_f64_e32 v[14:15], v[99:100], v[34:35]
	v_add_f64_e32 v[12:13], v[93:94], v[42:43]
	v_add_f64_e32 v[10:11], v[97:98], v[32:33]
	v_add_f64_e32 v[8:9], v[95:96], v[30:31]
	v_add_f64_e32 v[22:23], v[40:41], v[44:45]
	v_add_f64_e32 v[26:27], v[59:60], v[46:47]
	v_add_f64_e32 v[24:25], v[91:92], v[53:54]
	v_add_f64_e32 v[30:31], v[36:37], v[57:58]
	v_add_f64_e32 v[34:35], v[38:39], v[63:64]
	v_add_f64_e32 v[38:39], v[51:52], v[67:68]
	v_add_f64_e32 v[36:37], v[55:56], v[71:72]
	v_add_f64_e32 v[32:33], v[87:88], v[73:74]
	v_add_f64_e32 v[28:29], v[65:66], v[61:62]
	v_add_f64_e32 v[42:43], v[101:102], v[75:76]
	v_add_f64_e32 v[40:41], v[105:106], v[69:70]
	v_mul_u32_u24_e32 v44, 0xa0, v50
	s_delay_alu instid0(VALU_DEP_1)
	v_add3_u32 v44, v113, v44, v115
	v_add_f64_e32 v[6:7], v[77:78], v[6:7]
	v_add_f64_e32 v[4:5], v[79:80], v[4:5]
	;; [unrolled: 1-line block ×3, first 2 shown]
	ds_store_b128 v44, v[16:19] offset:64
	ds_store_b128 v44, v[12:15] offset:80
	;; [unrolled: 1-line block ×9, first 2 shown]
	ds_store_b128 v44, v[4:7]
	ds_store_b128 v44, v[20:23] offset:160
.LBB0_12:
	s_or_b32 exec_lo, exec_lo, s30
	v_add_nc_u32_e32 v32, -11, v50
	v_cmp_gt_u32_e64 s0, 11, v50
	v_mov_b32_e32 v34, 0
	global_wb scope:SCOPE_SE
	s_wait_dscnt 0x0
	s_barrier_signal -1
	s_barrier_wait -1
	s_wait_alu 0xf1ff
	v_cndmask_b32_e64 v47, v32, v50, s0
	global_inv scope:SCOPE_SE
	s_mov_b32 s2, 0x37e14327
	s_mov_b32 s3, 0x3fe948f6
	;; [unrolled: 1-line block ×3, first 2 shown]
	v_mul_i32_i24_e32 v33, 6, v47
	s_mov_b32 s10, 0xe976ee23
	s_mov_b32 s7, 0x3fac98ee
	;; [unrolled: 1-line block ×4, first 2 shown]
	v_lshlrev_b64_e32 v[4:5], 4, v[33:34]
	s_mov_b32 s12, 0x5476071b
	s_mov_b32 s15, 0xbfd5d0dc
	;; [unrolled: 1-line block ×3, first 2 shown]
	s_delay_alu instid0(VALU_DEP_1)
	v_add_co_u32 v24, s1, s4, v4
	s_wait_alu 0xf1ff
	v_add_co_ci_u32_e64 v25, s1, s5, v5, s1
	v_cmp_lt_u32_e64 s1, 10, v50
	s_clause 0x5
	global_load_b128 v[4:7], v[24:25], off
	global_load_b128 v[8:11], v[24:25], off offset:16
	global_load_b128 v[12:15], v[24:25], off offset:80
	;; [unrolled: 1-line block ×5, first 2 shown]
	ds_load_b128 v[28:31], v111 offset:352
	ds_load_b128 v[35:38], v111 offset:704
	ds_load_b128 v[39:42], v111 offset:2112
	ds_load_b128 v[43:46], v111 offset:1760
	ds_load_b128 v[51:54], v111 offset:1056
	ds_load_b128 v[55:58], v111 offset:1408
	s_wait_alu 0xf1ff
	v_cndmask_b32_e64 v33, 0, 0x4d0, s1
	s_delay_alu instid0(VALU_DEP_1)
	v_add_nc_u32_e32 v33, 0, v33
	s_wait_loadcnt_dscnt 0x505
	v_mul_f64_e32 v[59:60], v[30:31], v[6:7]
	v_mul_f64_e32 v[6:7], v[28:29], v[6:7]
	s_wait_loadcnt_dscnt 0x404
	v_mul_f64_e32 v[61:62], v[37:38], v[10:11]
	v_mul_f64_e32 v[10:11], v[35:36], v[10:11]
	;; [unrolled: 3-line block ×6, first 2 shown]
	v_fma_f64 v[28:29], v[28:29], v[4:5], v[59:60]
	v_fma_f64 v[4:5], v[30:31], v[4:5], -v[6:7]
	v_fma_f64 v[6:7], v[35:36], v[8:9], v[61:62]
	v_fma_f64 v[8:9], v[37:38], v[8:9], -v[10:11]
	;; [unrolled: 2-line block ×6, first 2 shown]
	v_add_f64_e32 v[26:27], v[28:29], v[10:11]
	v_add_f64_e32 v[30:31], v[4:5], v[12:13]
	;; [unrolled: 1-line block ×4, first 2 shown]
	v_add_f64_e64 v[14:15], v[6:7], -v[14:15]
	v_add_f64_e64 v[8:9], v[8:9], -v[16:17]
	v_add_f64_e32 v[39:40], v[18:19], v[22:23]
	v_add_f64_e32 v[41:42], v[20:21], v[24:25]
	v_add_f64_e64 v[16:17], v[22:23], -v[18:19]
	v_add_f64_e64 v[18:19], v[24:25], -v[20:21]
	;; [unrolled: 1-line block ×4, first 2 shown]
	v_add_f64_e32 v[4:5], v[35:36], v[26:27]
	v_add_f64_e32 v[6:7], v[37:38], v[30:31]
	v_add_f64_e64 v[10:11], v[26:27], -v[39:40]
	v_add_f64_e64 v[22:23], v[30:31], -v[41:42]
	;; [unrolled: 1-line block ×10, first 2 shown]
	v_add_f64_e32 v[14:15], v[16:17], v[14:15]
	v_add_f64_e32 v[35:36], v[18:19], v[8:9]
	v_add_f64_e64 v[16:17], v[20:21], -v[16:17]
	v_add_f64_e64 v[18:19], v[12:13], -v[18:19]
	v_add_f64_e32 v[39:40], v[39:40], v[4:5]
	v_add_f64_e32 v[41:42], v[41:42], v[6:7]
	ds_load_b128 v[4:7], v114
	global_wb scope:SCOPE_SE
	s_wait_dscnt 0x0
	s_wait_alu 0xfffe
	v_mul_f64_e32 v[37:38], s[2:3], v[10:11]
	v_mul_f64_e32 v[22:23], s[2:3], v[22:23]
	s_mov_b32 s2, 0x429ad128
	v_mul_f64_e32 v[55:56], s[6:7], v[24:25]
	v_mul_f64_e32 v[57:58], s[6:7], v[28:29]
	;; [unrolled: 1-line block ×4, first 2 shown]
	s_mov_b32 s3, 0xbfebfeb5
	s_mov_b32 s10, 0xaaaaaaaa
	s_wait_alu 0xfffe
	v_mul_f64_e32 v[59:60], s[2:3], v[51:52]
	v_mul_f64_e32 v[61:62], s[2:3], v[53:54]
	s_mov_b32 s11, 0xbff2aaaa
	s_barrier_signal -1
	s_barrier_wait -1
	global_inv scope:SCOPE_SE
	v_add_f64_e32 v[8:9], v[4:5], v[39:40]
	v_add_f64_e32 v[10:11], v[6:7], v[41:42]
	v_add_f64_e32 v[4:5], v[14:15], v[20:21]
	v_add_f64_e32 v[6:7], v[35:36], v[12:13]
	v_fma_f64 v[12:13], v[24:25], s[6:7], v[37:38]
	v_fma_f64 v[14:15], v[28:29], s[6:7], v[22:23]
	v_fma_f64 v[20:21], v[26:27], s[12:13], -v[55:56]
	v_fma_f64 v[24:25], v[30:31], s[12:13], -v[57:58]
	s_mov_b32 s13, 0xbfe77f67
	v_fma_f64 v[28:29], v[16:17], s[14:15], v[43:44]
	v_fma_f64 v[35:36], v[18:19], s[14:15], v[45:46]
	s_mov_b32 s15, 0x3fd5d0dc
	v_fma_f64 v[43:44], v[51:52], s[2:3], -v[43:44]
	v_fma_f64 v[45:46], v[53:54], s[2:3], -v[45:46]
	s_wait_alu 0xfffe
	v_fma_f64 v[16:17], v[16:17], s[14:15], -v[59:60]
	v_fma_f64 v[18:19], v[18:19], s[14:15], -v[61:62]
	;; [unrolled: 1-line block ×4, first 2 shown]
	s_mov_b32 s2, 0x37c3f68c
	s_mov_b32 s3, 0xbfdc38aa
	v_fma_f64 v[39:40], v[39:40], s[10:11], v[8:9]
	v_fma_f64 v[41:42], v[41:42], s[10:11], v[10:11]
	s_wait_alu 0xfffe
	v_fma_f64 v[37:38], v[4:5], s[2:3], v[28:29]
	v_fma_f64 v[35:36], v[6:7], s[2:3], v[35:36]
	;; [unrolled: 1-line block ×6, first 2 shown]
	v_add_f64_e32 v[43:44], v[12:13], v[39:40]
	v_add_f64_e32 v[45:46], v[14:15], v[41:42]
	;; [unrolled: 1-line block ×7, first 2 shown]
	v_add_f64_e64 v[14:15], v[45:46], -v[37:38]
	v_add_f64_e32 v[16:17], v[6:7], v[51:52]
	v_add_f64_e64 v[18:19], v[53:54], -v[4:5]
	v_add_f64_e64 v[20:21], v[26:27], -v[30:31]
	v_add_f64_e32 v[22:23], v[28:29], v[39:40]
	v_add_f64_e32 v[24:25], v[30:31], v[26:27]
	v_add_f64_e64 v[26:27], v[39:40], -v[28:29]
	v_add_f64_e64 v[28:29], v[51:52], -v[6:7]
	v_add_f64_e32 v[30:31], v[4:5], v[53:54]
	v_add_f64_e64 v[4:5], v[43:44], -v[35:36]
	v_add_f64_e32 v[6:7], v[37:38], v[45:46]
	v_lshlrev_b32_e32 v35, 4, v47
	s_delay_alu instid0(VALU_DEP_1)
	v_add3_u32 v33, v33, v35, v115
	ds_store_b128 v33, v[8:11]
	ds_store_b128 v33, v[12:15] offset:176
	ds_store_b128 v33, v[16:19] offset:352
	;; [unrolled: 1-line block ×6, first 2 shown]
	global_wb scope:SCOPE_SE
	s_wait_dscnt 0x0
	s_barrier_signal -1
	s_barrier_wait -1
	global_inv scope:SCOPE_SE
	ds_load_b128 v[12:15], v114
	ds_load_b128 v[16:19], v111 offset:352
	ds_load_b128 v[20:23], v111 offset:1232
	;; [unrolled: 1-line block ×5, first 2 shown]
	s_and_saveexec_b32 s1, s0
	s_cbranch_execz .LBB0_14
; %bb.13:
	ds_load_b128 v[4:7], v111 offset:1056
	ds_load_b128 v[0:3], v111 offset:2288
	v_add_nc_u32_e32 v32, 0x42, v50
.LBB0_14:
	s_wait_alu 0xfffe
	s_or_b32 exec_lo, exec_lo, s1
	v_mov_b32_e32 v51, v34
	v_lshl_add_u32 v33, v112, 4, v113
	s_delay_alu instid0(VALU_DEP_2) | instskip(NEXT) | instid1(VALU_DEP_1)
	v_lshlrev_b64_e32 v[34:35], 4, v[50:51]
	v_add_co_u32 v44, s1, s4, v34
	s_wait_alu 0xf1ff
	s_delay_alu instid0(VALU_DEP_2)
	v_add_co_ci_u32_e64 v45, s1, s5, v35, s1
	s_clause 0x2
	global_load_b128 v[36:39], v[44:45], off offset:1056
	global_load_b128 v[40:43], v[44:45], off offset:1408
	;; [unrolled: 1-line block ×3, first 2 shown]
	global_wb scope:SCOPE_SE
	s_wait_loadcnt_dscnt 0x0
	s_barrier_signal -1
	s_barrier_wait -1
	global_inv scope:SCOPE_SE
	v_mul_f64_e32 v[50:51], v[22:23], v[38:39]
	v_mul_f64_e32 v[38:39], v[20:21], v[38:39]
	;; [unrolled: 1-line block ×6, first 2 shown]
	v_fma_f64 v[20:21], v[20:21], v[36:37], v[50:51]
	v_fma_f64 v[22:23], v[22:23], v[36:37], -v[38:39]
	v_fma_f64 v[28:29], v[28:29], v[40:41], v[52:53]
	v_fma_f64 v[30:31], v[30:31], v[40:41], -v[42:43]
	;; [unrolled: 2-line block ×3, first 2 shown]
	v_add_f64_e64 v[20:21], v[12:13], -v[20:21]
	v_add_f64_e64 v[22:23], v[14:15], -v[22:23]
	;; [unrolled: 1-line block ×6, first 2 shown]
	v_fma_f64 v[12:13], v[12:13], 2.0, -v[20:21]
	v_fma_f64 v[14:15], v[14:15], 2.0, -v[22:23]
	v_fma_f64 v[16:17], v[16:17], 2.0, -v[24:25]
	v_fma_f64 v[18:19], v[18:19], 2.0, -v[26:27]
	v_fma_f64 v[8:9], v[8:9], 2.0, -v[28:29]
	v_fma_f64 v[10:11], v[10:11], 2.0, -v[30:31]
	ds_store_b128 v111, v[12:15]
	ds_store_b128 v111, v[16:19] offset:352
	ds_store_b128 v111, v[20:23] offset:1232
	;; [unrolled: 1-line block ×5, first 2 shown]
	s_and_saveexec_b32 s1, s0
	s_cbranch_execz .LBB0_16
; %bb.15:
	v_mov_b32_e32 v33, 0
	s_delay_alu instid0(VALU_DEP_1) | instskip(NEXT) | instid1(VALU_DEP_1)
	v_lshlrev_b64_e32 v[8:9], 4, v[32:33]
	v_add_co_u32 v8, s0, s4, v8
	s_wait_alu 0xf1ff
	s_delay_alu instid0(VALU_DEP_2) | instskip(SKIP_4) | instid1(VALU_DEP_2)
	v_add_co_ci_u32_e64 v9, s0, s5, v9, s0
	global_load_b128 v[8:11], v[8:9], off offset:1056
	s_wait_loadcnt 0x0
	v_mul_f64_e32 v[12:13], v[0:1], v[10:11]
	v_mul_f64_e32 v[10:11], v[2:3], v[10:11]
	v_fma_f64 v[2:3], v[2:3], v[8:9], -v[12:13]
	s_delay_alu instid0(VALU_DEP_2) | instskip(NEXT) | instid1(VALU_DEP_2)
	v_fma_f64 v[0:1], v[0:1], v[8:9], v[10:11]
	v_add_f64_e64 v[2:3], v[6:7], -v[2:3]
	s_delay_alu instid0(VALU_DEP_2) | instskip(NEXT) | instid1(VALU_DEP_2)
	v_add_f64_e64 v[0:1], v[4:5], -v[0:1]
	v_fma_f64 v[6:7], v[6:7], 2.0, -v[2:3]
	s_delay_alu instid0(VALU_DEP_2)
	v_fma_f64 v[4:5], v[4:5], 2.0, -v[0:1]
	ds_store_b128 v111, v[4:7] offset:1056
	ds_store_b128 v111, v[0:3] offset:2288
.LBB0_16:
	s_wait_alu 0xfffe
	s_or_b32 exec_lo, exec_lo, s1
	global_wb scope:SCOPE_SE
	s_wait_dscnt 0x0
	s_barrier_signal -1
	s_barrier_wait -1
	global_inv scope:SCOPE_SE
	s_and_saveexec_b32 s0, vcc_lo
	s_cbranch_execz .LBB0_18
; %bb.17:
	ds_load_b128 v[0:3], v114
	ds_load_b128 v[4:7], v114 offset:352
	ds_load_b128 v[8:11], v114 offset:704
	;; [unrolled: 1-line block ×6, first 2 shown]
	v_add_co_u32 v28, vcc_lo, s8, v48
	s_wait_alu 0xfffd
	v_add_co_ci_u32_e32 v29, vcc_lo, s9, v49, vcc_lo
	s_delay_alu instid0(VALU_DEP_2) | instskip(SKIP_1) | instid1(VALU_DEP_2)
	v_add_co_u32 v28, vcc_lo, v28, v34
	s_wait_alu 0xfffd
	v_add_co_ci_u32_e32 v29, vcc_lo, v29, v35, vcc_lo
	s_wait_dscnt 0x6
	global_store_b128 v[28:29], v[0:3], off
	s_wait_dscnt 0x5
	global_store_b128 v[28:29], v[4:7], off offset:352
	s_wait_dscnt 0x4
	global_store_b128 v[28:29], v[8:11], off offset:704
	;; [unrolled: 2-line block ×6, first 2 shown]
.LBB0_18:
	s_nop 0
	s_sendmsg sendmsg(MSG_DEALLOC_VGPRS)
	s_endpgm
	.section	.rodata,"a",@progbits
	.p2align	6, 0x0
	.amdhsa_kernel fft_rtc_back_len154_factors_11_7_2_wgs_110_tpt_22_dp_ip_CI_unitstride_sbrr_dirReg
		.amdhsa_group_segment_fixed_size 0
		.amdhsa_private_segment_fixed_size 0
		.amdhsa_kernarg_size 88
		.amdhsa_user_sgpr_count 2
		.amdhsa_user_sgpr_dispatch_ptr 0
		.amdhsa_user_sgpr_queue_ptr 0
		.amdhsa_user_sgpr_kernarg_segment_ptr 1
		.amdhsa_user_sgpr_dispatch_id 0
		.amdhsa_user_sgpr_private_segment_size 0
		.amdhsa_wavefront_size32 1
		.amdhsa_uses_dynamic_stack 0
		.amdhsa_enable_private_segment 0
		.amdhsa_system_sgpr_workgroup_id_x 1
		.amdhsa_system_sgpr_workgroup_id_y 0
		.amdhsa_system_sgpr_workgroup_id_z 0
		.amdhsa_system_sgpr_workgroup_info 0
		.amdhsa_system_vgpr_workitem_id 0
		.amdhsa_next_free_vgpr 192
		.amdhsa_next_free_sgpr 32
		.amdhsa_reserve_vcc 1
		.amdhsa_float_round_mode_32 0
		.amdhsa_float_round_mode_16_64 0
		.amdhsa_float_denorm_mode_32 3
		.amdhsa_float_denorm_mode_16_64 3
		.amdhsa_fp16_overflow 0
		.amdhsa_workgroup_processor_mode 1
		.amdhsa_memory_ordered 1
		.amdhsa_forward_progress 0
		.amdhsa_round_robin_scheduling 0
		.amdhsa_exception_fp_ieee_invalid_op 0
		.amdhsa_exception_fp_denorm_src 0
		.amdhsa_exception_fp_ieee_div_zero 0
		.amdhsa_exception_fp_ieee_overflow 0
		.amdhsa_exception_fp_ieee_underflow 0
		.amdhsa_exception_fp_ieee_inexact 0
		.amdhsa_exception_int_div_zero 0
	.end_amdhsa_kernel
	.text
.Lfunc_end0:
	.size	fft_rtc_back_len154_factors_11_7_2_wgs_110_tpt_22_dp_ip_CI_unitstride_sbrr_dirReg, .Lfunc_end0-fft_rtc_back_len154_factors_11_7_2_wgs_110_tpt_22_dp_ip_CI_unitstride_sbrr_dirReg
                                        ; -- End function
	.section	.AMDGPU.csdata,"",@progbits
; Kernel info:
; codeLenInByte = 5824
; NumSgprs: 34
; NumVgprs: 192
; ScratchSize: 0
; MemoryBound: 0
; FloatMode: 240
; IeeeMode: 1
; LDSByteSize: 0 bytes/workgroup (compile time only)
; SGPRBlocks: 4
; VGPRBlocks: 23
; NumSGPRsForWavesPerEU: 34
; NumVGPRsForWavesPerEU: 192
; Occupancy: 8
; WaveLimiterHint : 1
; COMPUTE_PGM_RSRC2:SCRATCH_EN: 0
; COMPUTE_PGM_RSRC2:USER_SGPR: 2
; COMPUTE_PGM_RSRC2:TRAP_HANDLER: 0
; COMPUTE_PGM_RSRC2:TGID_X_EN: 1
; COMPUTE_PGM_RSRC2:TGID_Y_EN: 0
; COMPUTE_PGM_RSRC2:TGID_Z_EN: 0
; COMPUTE_PGM_RSRC2:TIDIG_COMP_CNT: 0
	.text
	.p2alignl 7, 3214868480
	.fill 96, 4, 3214868480
	.type	__hip_cuid_6f5909a312a43473,@object ; @__hip_cuid_6f5909a312a43473
	.section	.bss,"aw",@nobits
	.globl	__hip_cuid_6f5909a312a43473
__hip_cuid_6f5909a312a43473:
	.byte	0                               ; 0x0
	.size	__hip_cuid_6f5909a312a43473, 1

	.ident	"AMD clang version 19.0.0git (https://github.com/RadeonOpenCompute/llvm-project roc-6.4.0 25133 c7fe45cf4b819c5991fe208aaa96edf142730f1d)"
	.section	".note.GNU-stack","",@progbits
	.addrsig
	.addrsig_sym __hip_cuid_6f5909a312a43473
	.amdgpu_metadata
---
amdhsa.kernels:
  - .args:
      - .actual_access:  read_only
        .address_space:  global
        .offset:         0
        .size:           8
        .value_kind:     global_buffer
      - .offset:         8
        .size:           8
        .value_kind:     by_value
      - .actual_access:  read_only
        .address_space:  global
        .offset:         16
        .size:           8
        .value_kind:     global_buffer
      - .actual_access:  read_only
        .address_space:  global
        .offset:         24
        .size:           8
        .value_kind:     global_buffer
      - .offset:         32
        .size:           8
        .value_kind:     by_value
      - .actual_access:  read_only
        .address_space:  global
        .offset:         40
        .size:           8
        .value_kind:     global_buffer
      - .actual_access:  read_only
        .address_space:  global
        .offset:         48
        .size:           8
        .value_kind:     global_buffer
      - .offset:         56
        .size:           4
        .value_kind:     by_value
      - .actual_access:  read_only
        .address_space:  global
        .offset:         64
        .size:           8
        .value_kind:     global_buffer
      - .actual_access:  read_only
        .address_space:  global
        .offset:         72
        .size:           8
        .value_kind:     global_buffer
      - .address_space:  global
        .offset:         80
        .size:           8
        .value_kind:     global_buffer
    .group_segment_fixed_size: 0
    .kernarg_segment_align: 8
    .kernarg_segment_size: 88
    .language:       OpenCL C
    .language_version:
      - 2
      - 0
    .max_flat_workgroup_size: 110
    .name:           fft_rtc_back_len154_factors_11_7_2_wgs_110_tpt_22_dp_ip_CI_unitstride_sbrr_dirReg
    .private_segment_fixed_size: 0
    .sgpr_count:     34
    .sgpr_spill_count: 0
    .symbol:         fft_rtc_back_len154_factors_11_7_2_wgs_110_tpt_22_dp_ip_CI_unitstride_sbrr_dirReg.kd
    .uniform_work_group_size: 1
    .uses_dynamic_stack: false
    .vgpr_count:     192
    .vgpr_spill_count: 0
    .wavefront_size: 32
    .workgroup_processor_mode: 1
amdhsa.target:   amdgcn-amd-amdhsa--gfx1201
amdhsa.version:
  - 1
  - 2
...

	.end_amdgpu_metadata
